;; amdgpu-corpus repo=ROCm/rocFFT kind=compiled arch=gfx950 opt=O3
	.text
	.amdgcn_target "amdgcn-amd-amdhsa--gfx950"
	.amdhsa_code_object_version 6
	.protected	fft_rtc_fwd_len702_factors_13_3_6_3_wgs_117_tpt_117_halfLds_sp_ip_CI_sbrr_dirReg ; -- Begin function fft_rtc_fwd_len702_factors_13_3_6_3_wgs_117_tpt_117_halfLds_sp_ip_CI_sbrr_dirReg
	.globl	fft_rtc_fwd_len702_factors_13_3_6_3_wgs_117_tpt_117_halfLds_sp_ip_CI_sbrr_dirReg
	.p2align	8
	.type	fft_rtc_fwd_len702_factors_13_3_6_3_wgs_117_tpt_117_halfLds_sp_ip_CI_sbrr_dirReg,@function
fft_rtc_fwd_len702_factors_13_3_6_3_wgs_117_tpt_117_halfLds_sp_ip_CI_sbrr_dirReg: ; @fft_rtc_fwd_len702_factors_13_3_6_3_wgs_117_tpt_117_halfLds_sp_ip_CI_sbrr_dirReg
; %bb.0:
	s_load_dwordx2 s[12:13], s[0:1], 0x18
	s_load_dwordx4 s[4:7], s[0:1], 0x0
	s_load_dwordx2 s[10:11], s[0:1], 0x50
	v_mul_u32_u24_e32 v1, 0x231, v0
	v_add_u32_sdwa v6, s2, v1 dst_sel:DWORD dst_unused:UNUSED_PAD src0_sel:DWORD src1_sel:WORD_1
	s_waitcnt lgkmcnt(0)
	s_load_dwordx2 s[8:9], s[12:13], 0x0
	v_mov_b32_e32 v4, 0
	v_cmp_lt_u64_e64 s[2:3], s[6:7], 2
	v_mov_b32_e32 v7, v4
	s_and_b64 vcc, exec, s[2:3]
	v_mov_b64_e32 v[2:3], 0
	s_cbranch_vccnz .LBB0_8
; %bb.1:
	s_load_dwordx2 s[2:3], s[0:1], 0x10
	s_add_u32 s14, s12, 8
	s_addc_u32 s15, s13, 0
	s_mov_b64 s[16:17], 1
	v_mov_b64_e32 v[2:3], 0
	s_waitcnt lgkmcnt(0)
	s_add_u32 s18, s2, 8
	s_addc_u32 s19, s3, 0
.LBB0_2:                                ; =>This Inner Loop Header: Depth=1
	s_load_dwordx2 s[20:21], s[18:19], 0x0
                                        ; implicit-def: $vgpr8_vgpr9
	s_waitcnt lgkmcnt(0)
	v_or_b32_e32 v5, s21, v7
	v_cmp_ne_u64_e32 vcc, 0, v[4:5]
	s_and_saveexec_b64 s[2:3], vcc
	s_xor_b64 s[22:23], exec, s[2:3]
	s_cbranch_execz .LBB0_4
; %bb.3:                                ;   in Loop: Header=BB0_2 Depth=1
	v_cvt_f32_u32_e32 v1, s20
	v_cvt_f32_u32_e32 v5, s21
	s_sub_u32 s2, 0, s20
	s_subb_u32 s3, 0, s21
	v_fmac_f32_e32 v1, 0x4f800000, v5
	v_rcp_f32_e32 v1, v1
	s_nop 0
	v_mul_f32_e32 v1, 0x5f7ffffc, v1
	v_mul_f32_e32 v5, 0x2f800000, v1
	v_trunc_f32_e32 v5, v5
	v_fmac_f32_e32 v1, 0xcf800000, v5
	v_cvt_u32_f32_e32 v5, v5
	v_cvt_u32_f32_e32 v1, v1
	v_mul_lo_u32 v8, s2, v5
	v_mul_hi_u32 v10, s2, v1
	v_mul_lo_u32 v9, s3, v1
	v_add_u32_e32 v10, v10, v8
	v_mul_lo_u32 v12, s2, v1
	v_add_u32_e32 v13, v10, v9
	v_mul_hi_u32 v8, v1, v12
	v_mul_hi_u32 v11, v1, v13
	v_mul_lo_u32 v10, v1, v13
	v_mov_b32_e32 v9, v4
	v_lshl_add_u64 v[8:9], v[8:9], 0, v[10:11]
	v_mul_hi_u32 v11, v5, v12
	v_mul_lo_u32 v12, v5, v12
	v_add_co_u32_e32 v8, vcc, v8, v12
	v_mul_hi_u32 v10, v5, v13
	s_nop 0
	v_addc_co_u32_e32 v8, vcc, v9, v11, vcc
	v_mov_b32_e32 v9, v4
	s_nop 0
	v_addc_co_u32_e32 v11, vcc, 0, v10, vcc
	v_mul_lo_u32 v10, v5, v13
	v_lshl_add_u64 v[8:9], v[8:9], 0, v[10:11]
	v_add_co_u32_e32 v1, vcc, v1, v8
	v_mul_lo_u32 v10, s2, v1
	s_nop 0
	v_addc_co_u32_e32 v5, vcc, v5, v9, vcc
	v_mul_lo_u32 v8, s2, v5
	v_mul_hi_u32 v9, s2, v1
	v_add_u32_e32 v8, v9, v8
	v_mul_lo_u32 v9, s3, v1
	v_add_u32_e32 v12, v8, v9
	v_mul_hi_u32 v14, v5, v10
	v_mul_lo_u32 v15, v5, v10
	v_mul_hi_u32 v9, v1, v12
	v_mul_lo_u32 v8, v1, v12
	v_mul_hi_u32 v10, v1, v10
	v_mov_b32_e32 v11, v4
	v_lshl_add_u64 v[8:9], v[10:11], 0, v[8:9]
	v_add_co_u32_e32 v8, vcc, v8, v15
	v_mul_hi_u32 v13, v5, v12
	s_nop 0
	v_addc_co_u32_e32 v8, vcc, v9, v14, vcc
	v_mul_lo_u32 v10, v5, v12
	s_nop 0
	v_addc_co_u32_e32 v11, vcc, 0, v13, vcc
	v_mov_b32_e32 v9, v4
	v_lshl_add_u64 v[8:9], v[8:9], 0, v[10:11]
	v_add_co_u32_e32 v1, vcc, v1, v8
	v_mul_hi_u32 v10, v6, v1
	s_nop 0
	v_addc_co_u32_e32 v5, vcc, v5, v9, vcc
	v_mad_u64_u32 v[8:9], s[2:3], v6, v5, 0
	v_mov_b32_e32 v11, v4
	v_lshl_add_u64 v[8:9], v[10:11], 0, v[8:9]
	v_mad_u64_u32 v[12:13], s[2:3], v7, v1, 0
	v_add_co_u32_e32 v1, vcc, v8, v12
	v_mad_u64_u32 v[10:11], s[2:3], v7, v5, 0
	s_nop 0
	v_addc_co_u32_e32 v8, vcc, v9, v13, vcc
	v_mov_b32_e32 v9, v4
	s_nop 0
	v_addc_co_u32_e32 v11, vcc, 0, v11, vcc
	v_lshl_add_u64 v[8:9], v[8:9], 0, v[10:11]
	v_mul_lo_u32 v1, s21, v8
	v_mul_lo_u32 v5, s20, v9
	v_mad_u64_u32 v[10:11], s[2:3], s20, v8, 0
	v_add3_u32 v1, v11, v5, v1
	v_sub_u32_e32 v5, v7, v1
	v_mov_b32_e32 v11, s21
	v_sub_co_u32_e32 v14, vcc, v6, v10
	v_lshl_add_u64 v[12:13], v[8:9], 0, 1
	s_nop 0
	v_subb_co_u32_e64 v5, s[2:3], v5, v11, vcc
	v_subrev_co_u32_e64 v10, s[2:3], s20, v14
	v_subb_co_u32_e32 v1, vcc, v7, v1, vcc
	s_nop 0
	v_subbrev_co_u32_e64 v5, s[2:3], 0, v5, s[2:3]
	v_cmp_le_u32_e64 s[2:3], s21, v5
	v_cmp_le_u32_e32 vcc, s21, v1
	s_nop 0
	v_cndmask_b32_e64 v11, 0, -1, s[2:3]
	v_cmp_le_u32_e64 s[2:3], s20, v10
	s_nop 1
	v_cndmask_b32_e64 v10, 0, -1, s[2:3]
	v_cmp_eq_u32_e64 s[2:3], s21, v5
	s_nop 1
	v_cndmask_b32_e64 v5, v11, v10, s[2:3]
	v_lshl_add_u64 v[10:11], v[8:9], 0, 2
	v_cmp_ne_u32_e64 s[2:3], 0, v5
	s_nop 1
	v_cndmask_b32_e64 v5, v13, v11, s[2:3]
	v_cndmask_b32_e64 v11, 0, -1, vcc
	v_cmp_le_u32_e32 vcc, s20, v14
	s_nop 1
	v_cndmask_b32_e64 v13, 0, -1, vcc
	v_cmp_eq_u32_e32 vcc, s21, v1
	s_nop 1
	v_cndmask_b32_e32 v1, v11, v13, vcc
	v_cmp_ne_u32_e32 vcc, 0, v1
	v_cndmask_b32_e64 v1, v12, v10, s[2:3]
	s_nop 0
	v_cndmask_b32_e32 v9, v9, v5, vcc
	v_cndmask_b32_e32 v8, v8, v1, vcc
.LBB0_4:                                ;   in Loop: Header=BB0_2 Depth=1
	s_andn2_saveexec_b64 s[2:3], s[22:23]
	s_cbranch_execz .LBB0_6
; %bb.5:                                ;   in Loop: Header=BB0_2 Depth=1
	v_cvt_f32_u32_e32 v1, s20
	s_sub_i32 s22, 0, s20
	v_rcp_iflag_f32_e32 v1, v1
	s_nop 0
	v_mul_f32_e32 v1, 0x4f7ffffe, v1
	v_cvt_u32_f32_e32 v1, v1
	v_mul_lo_u32 v5, s22, v1
	v_mul_hi_u32 v5, v1, v5
	v_add_u32_e32 v1, v1, v5
	v_mul_hi_u32 v1, v6, v1
	v_mul_lo_u32 v5, v1, s20
	v_sub_u32_e32 v5, v6, v5
	v_add_u32_e32 v8, 1, v1
	v_subrev_u32_e32 v9, s20, v5
	v_cmp_le_u32_e32 vcc, s20, v5
	s_nop 1
	v_cndmask_b32_e32 v5, v5, v9, vcc
	v_cndmask_b32_e32 v1, v1, v8, vcc
	v_add_u32_e32 v8, 1, v1
	v_cmp_le_u32_e32 vcc, s20, v5
	v_mov_b32_e32 v9, v4
	s_nop 0
	v_cndmask_b32_e32 v8, v1, v8, vcc
.LBB0_6:                                ;   in Loop: Header=BB0_2 Depth=1
	s_or_b64 exec, exec, s[2:3]
	v_mad_u64_u32 v[10:11], s[2:3], v8, s20, 0
	s_load_dwordx2 s[2:3], s[14:15], 0x0
	v_mul_lo_u32 v1, v9, s20
	v_mul_lo_u32 v5, v8, s21
	v_add3_u32 v1, v11, v5, v1
	v_sub_co_u32_e32 v5, vcc, v6, v10
	s_add_u32 s16, s16, 1
	s_nop 0
	v_subb_co_u32_e32 v1, vcc, v7, v1, vcc
	s_addc_u32 s17, s17, 0
	s_waitcnt lgkmcnt(0)
	v_mul_lo_u32 v1, s2, v1
	v_mul_lo_u32 v6, s3, v5
	v_mad_u64_u32 v[2:3], s[2:3], s2, v5, v[2:3]
	s_add_u32 s14, s14, 8
	v_add3_u32 v3, v6, v3, v1
	s_addc_u32 s15, s15, 0
	v_mov_b64_e32 v[6:7], s[6:7]
	s_add_u32 s18, s18, 8
	v_cmp_ge_u64_e32 vcc, s[16:17], v[6:7]
	s_addc_u32 s19, s19, 0
	s_cbranch_vccnz .LBB0_9
; %bb.7:                                ;   in Loop: Header=BB0_2 Depth=1
	v_mov_b64_e32 v[6:7], v[8:9]
	s_branch .LBB0_2
.LBB0_8:
	v_mov_b64_e32 v[8:9], v[6:7]
.LBB0_9:
	s_lshl_b64 s[2:3], s[6:7], 3
	s_add_u32 s2, s12, s2
	s_addc_u32 s3, s13, s3
	s_load_dwordx2 s[6:7], s[2:3], 0x0
	s_load_dwordx2 s[12:13], s[0:1], 0x20
                                        ; implicit-def: $vgpr10
                                        ; implicit-def: $vgpr35
                                        ; implicit-def: $vgpr56
                                        ; implicit-def: $vgpr42
                                        ; implicit-def: $vgpr24
                                        ; implicit-def: $vgpr26
                                        ; implicit-def: $vgpr44
                                        ; implicit-def: $vgpr28
                                        ; implicit-def: $vgpr46
                                        ; implicit-def: $vgpr30
	s_waitcnt lgkmcnt(0)
	v_mad_u64_u32 v[4:5], s[0:1], s6, v8, v[2:3]
	v_mul_lo_u32 v1, s6, v9
	v_mul_lo_u32 v6, s7, v8
	s_mov_b32 s0, 0x2302303
	v_add3_u32 v5, v6, v5, v1
	v_mul_hi_u32 v1, v0, s0
	v_mul_u32_u24_e32 v1, 0x75, v1
	v_sub_u32_e32 v64, v0, v1
	v_cmp_gt_u64_e32 vcc, s[12:13], v[8:9]
	v_cmp_gt_u32_e64 s[0:1], 54, v64
	s_and_b64 s[6:7], vcc, s[0:1]
	v_mov_b32_e32 v3, 0
	v_lshl_add_u64 v[0:1], v[4:5], 3, s[10:11]
	v_mov_b32_e32 v2, 0
                                        ; implicit-def: $vgpr6
                                        ; implicit-def: $vgpr8
                                        ; implicit-def: $vgpr4
	s_and_saveexec_b64 s[2:3], s[6:7]
	s_cbranch_execz .LBB0_11
; %bb.10:
	v_mad_u64_u32 v[2:3], s[6:7], s8, v64, 0
	v_mov_b32_e32 v4, v3
	v_mad_u64_u32 v[4:5], s[6:7], s9, v64, v[4:5]
	v_mov_b32_e32 v3, v4
	v_add_u32_e32 v5, 54, v64
	v_lshl_add_u64 v[6:7], v[2:3], 3, v[0:1]
	v_mad_u64_u32 v[2:3], s[6:7], s8, v5, 0
	v_mov_b32_e32 v4, v3
	v_mad_u64_u32 v[4:5], s[6:7], s9, v5, v[4:5]
	v_mov_b32_e32 v3, v4
	v_lshl_add_u64 v[8:9], v[2:3], 3, v[0:1]
	global_load_dwordx2 v[2:3], v[6:7], off
	global_load_dwordx2 v[4:5], v[8:9], off
	v_add_u32_e32 v9, 0x6c, v64
	v_mad_u64_u32 v[6:7], s[6:7], s8, v9, 0
	v_mov_b32_e32 v8, v7
	v_mad_u64_u32 v[8:9], s[6:7], s9, v9, v[8:9]
	v_mov_b32_e32 v7, v8
	v_add_u32_e32 v9, 0xa2, v64
	v_lshl_add_u64 v[10:11], v[6:7], 3, v[0:1]
	v_mad_u64_u32 v[6:7], s[6:7], s8, v9, 0
	v_mov_b32_e32 v8, v7
	v_mad_u64_u32 v[8:9], s[6:7], s9, v9, v[8:9]
	v_mov_b32_e32 v7, v8
	v_add_u32_e32 v9, 0xd8, v64
	v_lshl_add_u64 v[12:13], v[6:7], 3, v[0:1]
	v_mad_u64_u32 v[6:7], s[6:7], s8, v9, 0
	v_mov_b32_e32 v8, v7
	v_mad_u64_u32 v[8:9], s[6:7], s9, v9, v[8:9]
	v_mov_b32_e32 v7, v8
	v_lshl_add_u64 v[6:7], v[6:7], 3, v[0:1]
	v_add_u32_e32 v9, 0x10e, v64
	global_load_dwordx2 v[56:57], v[6:7], off
	v_mad_u64_u32 v[6:7], s[6:7], s8, v9, 0
	v_mov_b32_e32 v8, v7
	v_mad_u64_u32 v[8:9], s[6:7], s9, v9, v[8:9]
	v_mov_b32_e32 v7, v8
	v_add_u32_e32 v9, 0x144, v64
	v_lshl_add_u64 v[14:15], v[6:7], 3, v[0:1]
	v_mad_u64_u32 v[6:7], s[6:7], s8, v9, 0
	v_mov_b32_e32 v8, v7
	v_mad_u64_u32 v[8:9], s[6:7], s9, v9, v[8:9]
	v_mov_b32_e32 v7, v8
	v_add_u32_e32 v9, 0x17a, v64
	v_lshl_add_u64 v[16:17], v[6:7], 3, v[0:1]
	v_mad_u64_u32 v[6:7], s[6:7], s8, v9, 0
	v_mov_b32_e32 v8, v7
	v_mad_u64_u32 v[8:9], s[6:7], s9, v9, v[8:9]
	v_mov_b32_e32 v7, v8
	v_lshl_add_u64 v[6:7], v[6:7], 3, v[0:1]
	v_add_u32_e32 v9, 0x1b0, v64
	global_load_dwordx2 v[34:35], v[6:7], off
	v_mad_u64_u32 v[6:7], s[6:7], s8, v9, 0
	v_mov_b32_e32 v8, v7
	v_mad_u64_u32 v[8:9], s[6:7], s9, v9, v[8:9]
	v_mov_b32_e32 v7, v8
	v_lshl_add_u64 v[18:19], v[6:7], 3, v[0:1]
	global_load_dwordx2 v[6:7], v[16:17], off
	global_load_dwordx2 v[8:9], v[14:15], off
	v_add_u32_e32 v17, 0x1e6, v64
	v_mad_u64_u32 v[14:15], s[6:7], s8, v17, 0
	v_mov_b32_e32 v16, v15
	v_mad_u64_u32 v[16:17], s[6:7], s9, v17, v[16:17]
	v_add_u32_e32 v21, 0x21c, v64
	v_mov_b32_e32 v15, v16
	v_mad_u64_u32 v[16:17], s[6:7], s8, v21, 0
	v_mov_b32_e32 v20, v17
	global_load_dwordx2 v[44:45], v[12:13], off
	global_load_dwordx2 v[46:47], v[10:11], off
	v_add_u32_e32 v13, 0x288, v64
	v_mad_u64_u32 v[20:21], s[6:7], s9, v21, v[20:21]
	v_add_u32_e32 v23, 0x252, v64
	v_mad_u64_u32 v[10:11], s[6:7], s8, v13, 0
	v_mov_b32_e32 v17, v20
	v_mad_u64_u32 v[20:21], s[6:7], s8, v23, 0
	v_mov_b32_e32 v12, v11
	v_mov_b32_e32 v22, v21
	v_mad_u64_u32 v[12:13], s[6:7], s9, v13, v[12:13]
	v_mad_u64_u32 v[22:23], s[6:7], s9, v23, v[22:23]
	v_mov_b32_e32 v11, v12
	v_mov_b32_e32 v21, v22
	v_lshl_add_u64 v[10:11], v[10:11], 3, v[0:1]
	v_lshl_add_u64 v[14:15], v[14:15], 3, v[0:1]
	;; [unrolled: 1-line block ×4, first 2 shown]
	global_load_dwordx2 v[42:43], v[10:11], off
	global_load_dwordx2 v[24:25], v[18:19], off
	;; [unrolled: 1-line block ×5, first 2 shown]
	s_waitcnt vmcnt(10)
	v_mov_b32_e32 v10, v57
	s_waitcnt vmcnt(4)
	v_mov_b32_e32 v11, v43
.LBB0_11:
	s_or_b64 exec, exec, s[2:3]
	v_mov_b32_e32 v57, v10
	v_mov_b32_e32 v43, v42
	s_waitcnt vmcnt(0)
	v_pk_add_f32 v[12:13], v[46:47], v[30:31]
	v_pk_add_f32 v[40:41], v[46:47], v[30:31] neg_lo:[0,1] neg_hi:[0,1]
	v_pk_add_f32 v[20:21], v[44:45], v[28:29]
	v_pk_add_f32 v[38:39], v[44:45], v[28:29] neg_lo:[0,1] neg_hi:[0,1]
	;; [unrolled: 2-line block ×5, first 2 shown]
	s_and_saveexec_b64 s[2:3], s[0:1]
	s_cbranch_execz .LBB0_13
; %bb.12:
	v_mov_b32_e32 v52, v12
	v_mov_b32_e32 v53, v41
	s_mov_b32 s15, 0xbf52af12
	s_mov_b32 s14, 0x3f116cb1
	;; [unrolled: 1-line block ×4, first 2 shown]
	v_pk_mul_f32 v[48:49], v[52:53], s[14:15]
	v_mov_b32_e32 v54, v22
	v_mov_b32_e32 v55, v37
	v_pk_mul_f32 v[50:51], v[54:55], s[16:17]
	v_mov_b32_e32 v57, v48
	v_pk_fma_f32 v[60:61], v[52:53], s[14:15], v[56:57] neg_lo:[1,0,0] neg_hi:[1,0,0]
	v_mov_b32_e32 v53, v50
	s_mov_b32 s13, 0xbe750f2a
	v_pk_fma_f32 v[58:59], v[54:55], s[16:17], v[52:53] neg_lo:[1,0,0] neg_hi:[1,0,0]
	v_mov_b32_e32 v54, v16
	v_mov_b32_e32 v55, v19
	s_mov_b32 s12, 0xbf788fa5
	v_pk_mul_f32 v[52:53], v[54:55], s[12:13]
	s_mov_b32 s20, 0xbf3f9e67
	v_mov_b32_e32 v57, v52
	v_pk_fma_f32 v[62:63], v[54:55], s[12:13], v[56:57] neg_lo:[1,0,0] neg_hi:[1,0,0]
	v_mov_b32_e32 v55, v2
	v_mov_b32_e32 v54, v2
	v_pk_add_f32 v[66:67], v[54:55], v[4:5]
	v_mov_b32_e32 v57, v42
	v_pk_add_f32 v[66:67], v[66:67], v[46:47]
	s_mov_b32 s21, 0xbf29c268
	v_pk_add_f32 v[66:67], v[66:67], v[44:45]
	s_mov_b32 s22, 0x3df6dbef
	v_mov_b32_e32 v67, v4
	v_pk_add_f32 v[56:57], v[66:67], v[56:57]
	s_mov_b32 s18, s17
	s_mov_b32 s27, s17
	;; [unrolled: 1-line block ×10, first 2 shown]
	v_pk_add_f32 v[66:67], v[4:5], v[10:11] neg_lo:[0,1] neg_hi:[0,1]
	v_pk_mul_f32 v[68:69], v[56:57], s[16:17] op_sel:[1,0]
	v_mov_b32_e32 v54, v34
	s_mov_b32 s7, 0x3eedf032
	s_mov_b32 s24, s6
	;; [unrolled: 1-line block ×3, first 2 shown]
	v_pk_fma_f32 v[70:71], v[66:67], s[28:29], v[68:69] op_sel:[1,0,0]
	v_pk_mul_f32 v[72:73], v[12:13], s[30:31] op_sel_hi:[0,1]
	s_mov_b32 s17, 0x3f62ad3f
	v_pk_add_f32 v[70:71], v[54:55], v[70:71] op_sel:[1,0]
	v_pk_fma_f32 v[74:75], v[40:41], s[24:25], v[72:73] op_sel:[1,0,0]
	s_mov_b32 s30, s17
	s_mov_b32 s31, s14
	v_pk_add_f32 v[70:71], v[70:71], v[74:75]
	s_mov_b32 s36, s7
	s_mov_b32 s37, s15
	v_pk_mul_f32 v[74:75], v[20:21], s[30:31] op_sel_hi:[0,1]
	v_pk_fma_f32 v[76:77], v[38:39], s[36:37], v[74:75] op_sel:[1,0,0]
	s_mov_b32 s30, s22
	s_mov_b32 s31, s12
	v_pk_add_f32 v[70:71], v[70:71], v[76:77]
	s_mov_b32 s39, 0x3e750f2a
	s_mov_b32 s38, s23
	v_pk_mul_f32 v[76:77], v[22:23], s[30:31] op_sel_hi:[0,1]
	v_pk_fma_f32 v[78:79], v[36:37], s[38:39], v[76:77] op_sel:[1,0,0]
	s_mov_b32 s19, s13
	s_mov_b32 s30, s13
	;; [unrolled: 1-line block ×3, first 2 shown]
	v_pk_add_f32 v[70:71], v[70:71], v[78:79]
	s_mov_b32 s40, s39
	s_mov_b32 s41, s7
	v_pk_mul_f32 v[78:79], v[14:15], s[12:13] op_sel_hi:[0,1]
	v_pk_fma_f32 v[80:81], v[32:33], s[40:41], v[78:79] op_sel:[1,0,0]
	s_mov_b32 s11, s15
	s_mov_b32 s34, s15
	;; [unrolled: 1-line block ×3, first 2 shown]
	v_pk_add_f32 v[70:71], v[70:71], v[80:81]
	s_mov_b32 s26, 0x3f52af12
	v_pk_mul_f32 v[80:81], v[16:17], s[14:15] op_sel_hi:[0,1]
	v_pk_fma_f32 v[82:83], v[18:19], s[26:27], v[80:81] op_sel:[1,0,0]
	v_mad_u32_u24 v94, v64, 52, 0
	v_pk_add_f32 v[70:71], v[70:71], v[82:83]
	v_mov_b32_e32 v89, 0x3f62ad3f
	v_mov_b32_e32 v88, v8
	v_mul_f32_e32 v91, 0xbeedf032, v67
	v_mov_b32_e32 v90, v6
	v_mov_b32_e32 v34, v71
	ds_write2_b32 v94, v71, v70 offset0:8 offset1:9
	v_mov_b32_e32 v70, v20
	v_mov_b32_e32 v71, v39
	v_pk_fma_f32 v[88:89], v[56:57], v[88:89], v[90:91] neg_lo:[0,0,1] neg_hi:[0,0,1]
	v_pk_add_f32 v[90:91], v[56:57], v[8:9]
	v_pk_mul_f32 v[82:83], v[70:71], s[22:23]
	v_pk_add_f32 v[90:91], v[90:91], v[6:7]
	v_mov_b32_e32 v65, v82
	v_mov_b32_e32 v84, v14
	v_mov_b32_e32 v85, v33
	v_mov_b32_e32 v91, v89
	v_pk_fma_f32 v[70:71], v[70:71], s[22:23], v[64:65] neg_lo:[1,0,0] neg_hi:[1,0,0]
	v_pk_mul_f32 v[86:87], v[84:85], s[20:21]
	v_pk_add_f32 v[88:89], v[90:91], v[54:55]
	v_mov_b32_e32 v60, v24
	v_mov_b32_e32 v65, v86
	v_pk_add_f32 v[60:61], v[60:61], v[88:89]
	v_mov_b32_e32 v70, v26
	v_pk_fma_f32 v[84:85], v[84:85], s[20:21], v[64:65] neg_lo:[1,0,0] neg_hi:[1,0,0]
	v_pk_add_f32 v[60:61], v[70:71], v[60:61]
	v_mov_b32_e32 v58, v28
	v_pk_add_f32 v[58:59], v[58:59], v[60:61]
	v_mov_b32_e32 v84, v30
	;; [unrolled: 2-line block ×3, first 2 shown]
	v_pk_add_f32 v[58:59], v[62:63], v[58:59]
	s_mov_b32 s44, s14
	s_mov_b32 s45, s22
	ds_write2_b32 v94, v58, v59 offset1:1
	s_mov_b32 s42, s16
	s_mov_b32 s43, s12
	;; [unrolled: 1-line block ×3, first 2 shown]
	v_pk_mul_f32 v[58:59], v[56:57], s[44:45] op_sel:[1,0]
	v_pk_mul_f32 v[62:63], v[12:13], s[42:43] op_sel_hi:[0,1]
	v_pk_fma_f32 v[60:61], v[66:67], s[34:35], v[58:59] op_sel:[1,0,0] neg_lo:[1,0,0] neg_hi:[1,0,0]
	v_pk_fma_f32 v[70:71], v[40:41], s[18:19], v[62:63] op_sel:[1,0,0] neg_lo:[1,0,0] neg_hi:[1,0,0]
	v_pk_add_f32 v[60:61], v[54:55], v[60:61] op_sel:[1,0]
	s_mov_b32 s13, s16
	v_pk_add_f32 v[60:61], v[60:61], v[70:71]
	s_mov_b32 s31, 0x3f6f5d39
	v_pk_mul_f32 v[70:71], v[20:21], s[12:13] op_sel_hi:[0,1]
	v_pk_fma_f32 v[84:85], v[38:39], s[30:31], v[70:71] op_sel:[1,0,0] neg_lo:[1,0,0] neg_hi:[1,0,0]
	s_mov_b32 s16, s20
	v_pk_add_f32 v[60:61], v[60:61], v[84:85]
	v_pk_mul_f32 v[84:85], v[22:23], s[16:17] op_sel_hi:[0,1]
	v_pk_fma_f32 v[88:89], v[36:37], s[6:7], v[84:85] op_sel:[1,0,0] neg_lo:[1,0,0] neg_hi:[1,0,0]
	s_mov_b32 s23, s14
	v_pk_add_f32 v[60:61], v[60:61], v[88:89]
	v_pk_mul_f32 v[88:89], v[14:15], s[22:23] op_sel_hi:[0,1]
	v_pk_fma_f32 v[90:91], v[32:33], s[10:11], v[88:89] op_sel:[1,0,0] neg_lo:[1,0,0] neg_hi:[1,0,0]
	s_mov_b32 s12, s17
	s_mov_b32 s13, s20
	v_pk_add_f32 v[60:61], v[60:61], v[90:91]
	s_mov_b32 s20, s7
	v_pk_mul_f32 v[90:91], v[16:17], s[12:13] op_sel_hi:[0,1]
	v_pk_fma_f32 v[92:93], v[18:19], s[20:21], v[90:91] op_sel:[1,0,0] neg_lo:[1,0,0] neg_hi:[1,0,0]
	v_pk_fma_f32 v[68:69], v[66:67], s[28:29], v[68:69] op_sel:[1,0,0] neg_lo:[1,0,0] neg_hi:[1,0,0]
	v_pk_add_f32 v[60:61], v[60:61], v[92:93]
	ds_write2_b32 v94, v60, v61 offset0:2 offset1:3
	v_pk_fma_f32 v[60:61], v[40:41], s[24:25], v[72:73] op_sel:[1,0,0] neg_lo:[1,0,0] neg_hi:[1,0,0]
	v_pk_add_f32 v[68:69], v[54:55], v[68:69] op_sel:[1,0]
	v_mul_f32_e32 v6, 0x3f62ad3f, v12
	v_pk_add_f32 v[60:61], v[68:69], v[60:61]
	v_pk_fma_f32 v[68:69], v[38:39], s[36:37], v[74:75] op_sel:[1,0,0] neg_lo:[1,0,0] neg_hi:[1,0,0]
	v_mul_f32_e32 v8, 0x3eedf032, v41
	v_pk_add_f32 v[60:61], v[60:61], v[68:69]
	v_pk_fma_f32 v[68:69], v[36:37], s[38:39], v[76:77] op_sel:[1,0,0] neg_lo:[1,0,0] neg_hi:[1,0,0]
	v_add_f32_e32 v24, v83, v82
	v_pk_add_f32 v[60:61], v[60:61], v[68:69]
	v_pk_fma_f32 v[68:69], v[32:33], s[40:41], v[78:79] op_sel:[1,0,0] neg_lo:[1,0,0] neg_hi:[1,0,0]
	v_add_f32_e32 v26, v51, v50
	v_pk_add_f32 v[60:61], v[60:61], v[68:69]
	v_pk_fma_f32 v[68:69], v[18:19], s[26:27], v[80:81] op_sel:[1,0,0] neg_lo:[1,0,0] neg_hi:[1,0,0]
	v_pk_fma_f32 v[50:51], v[36:37], s[6:7], v[84:85] op_sel:[1,0,0]
	v_pk_add_f32 v[60:61], v[60:61], v[68:69]
	ds_write2_b32 v94, v60, v61 offset0:4 offset1:5
	v_pk_add_f32 v[60:61], v[6:7], v[8:9] neg_lo:[0,1] neg_hi:[0,1]
	v_pk_add_f32 v[68:69], v[6:7], v[8:9]
	v_mul_f32_e32 v6, 0xbf3f9e67, v20
	v_mul_f32_e32 v8, 0xbf29c268, v39
	v_mov_b32_e32 v61, v68
	v_pk_add_f32 v[68:69], v[6:7], v[8:9] neg_lo:[0,1] neg_hi:[0,1]
	v_pk_add_f32 v[72:73], v[6:7], v[8:9]
	v_mul_f32_e32 v6, 0x3f116cb1, v22
	v_mul_f32_e32 v8, 0x3f52af12, v37
	v_mov_b32_e32 v69, v72
	;; [unrolled: 5-line block ×5, first 2 shown]
	v_pk_add_f32 v[78:79], v[8:9], v[6:7] neg_lo:[0,1] neg_hi:[0,1]
	v_pk_add_f32 v[80:81], v[8:9], v[6:7]
	v_mul_f32_e32 v6, 0x3f62ad3f, v57
	v_mov_b32_e32 v79, v80
	v_pk_fma_f32 v[56:57], v[66:67], s[34:35], v[58:59] op_sel:[1,0,0]
	v_pk_add_f32 v[78:79], v[54:55], v[78:79] op_sel:[1,0]
	v_fmac_f32_e32 v6, 0xbeedf032, v67
	v_pk_add_f32 v[54:55], v[54:55], v[56:57] op_sel:[1,0]
	v_pk_fma_f32 v[56:57], v[40:41], s[18:19], v[62:63] op_sel:[1,0,0]
	v_pk_add_f32 v[60:61], v[78:79], v[60:61]
	v_pk_add_f32 v[54:55], v[54:55], v[56:57]
	v_add_f32_e32 v8, v49, v48
	v_add_f32_e32 v2, v2, v6
	v_pk_fma_f32 v[48:49], v[38:39], s[30:31], v[70:71] op_sel:[1,0,0]
	v_pk_add_f32 v[60:61], v[60:61], v[68:69]
	v_add_f32_e32 v2, v2, v8
	v_pk_add_f32 v[48:49], v[54:55], v[48:49]
	v_pk_add_f32 v[60:61], v[60:61], v[72:73]
	v_add_f32_e32 v30, v53, v52
	v_add_f32_e32 v2, v2, v24
	v_pk_fma_f32 v[52:53], v[32:33], s[10:11], v[88:89] op_sel:[1,0,0]
	v_pk_add_f32 v[48:49], v[48:49], v[50:51]
	v_pk_add_f32 v[60:61], v[60:61], v[74:75]
	v_add_f32_e32 v28, v87, v86
	v_add_f32_e32 v2, v2, v26
	v_pk_fma_f32 v[56:57], v[18:19], s[20:21], v[90:91] op_sel:[1,0,0]
	v_pk_add_f32 v[48:49], v[48:49], v[52:53]
	v_pk_add_f32 v[60:61], v[60:61], v[76:77]
	v_add_f32_e32 v2, v2, v28
	v_pk_add_f32 v[48:49], v[48:49], v[56:57]
	ds_write2_b32 v94, v60, v61 offset0:6 offset1:7
	v_add_f32_e32 v6, v2, v30
	v_mov_b32_e32 v2, v49
	ds_write2_b32 v94, v49, v48 offset0:10 offset1:11
	ds_write_b32 v94, v6 offset:48
.LBB0_13:
	s_or_b64 exec, exec, s[2:3]
	v_lshl_add_u32 v8, v64, 2, 0
	v_add_u32_e32 v6, 0x200, v8
	v_add_u32_e32 v24, 0x600, v8
	s_waitcnt lgkmcnt(0)
	s_barrier
	ds_read2_b32 v[48:49], v8 offset1:117
	ds_read2_b32 v[50:51], v6 offset0:106 offset1:223
	ds_read2_b32 v[52:53], v24 offset0:84 offset1:201
	s_waitcnt lgkmcnt(0)
	s_barrier
	s_and_saveexec_b64 s[2:3], s[0:1]
	s_cbranch_execz .LBB0_15
; %bb.14:
	v_mov_b32_e32 v2, v35
	v_pk_add_f32 v[34:35], v[2:3], v[4:5]
	s_mov_b32 s7, 0xbf52af12
	v_pk_add_f32 v[34:35], v[34:35], v[46:47]
	v_mov_b32_e32 v46, v13
	v_mov_b32_e32 v47, v40
	s_mov_b32 s6, 0x3f116cb1
	v_pk_add_f32 v[34:35], v[34:35], v[44:45]
	v_pk_mul_f32 v[54:55], v[46:47], s[6:7]
	s_mov_b32 s18, 0x3df6dbef
	v_pk_add_f32 v[42:43], v[4:5], v[42:43] neg_lo:[0,1] neg_hi:[0,1]
	v_mov_b32_e32 v57, v54
	v_sub_f32_e32 v63, v54, v55
	v_mov_b32_e32 v54, v21
	v_mov_b32_e32 v55, v38
	s_mov_b32 s19, 0xbf7e222b
	v_mov_b32_e32 v4, v35
	v_pk_fma_f32 v[46:47], v[46:47], s[6:7], v[56:57]
	v_pk_mul_f32 v[56:57], v[54:55], s[18:19]
	v_pk_add_f32 v[4:5], v[4:5], v[10:11]
	v_mov_b32_e32 v71, 0x3f62ad3f
	v_mov_b32_e32 v70, v9
	;; [unrolled: 1-line block ×3, first 2 shown]
	s_mov_b32 s16, 0xbeb58ec6
	v_pk_add_f32 v[72:73], v[4:5], v[70:71]
	v_pk_mul_f32 v[70:71], v[4:5], v[70:71]
	v_mul_f32_e32 v45, 0xbeedf032, v42
	v_pk_fma_f32 v[54:55], v[54:55], s[18:19], v[58:59]
	v_mov_b32_e32 v58, v23
	v_mov_b32_e32 v59, v36
	s_mov_b32 s17, 0xbf6f5d39
	v_mov_b32_e32 v73, v71
	v_mov_b32_e32 v44, v7
	s_mov_b32 s14, 0xbf3f9e67
	s_mov_b32 s15, 0xbf29c268
	v_pk_mul_f32 v[60:61], v[58:59], s[16:17]
	v_mov_b32_e32 v66, v15
	v_mov_b32_e32 v67, v32
	v_pk_add_f32 v[44:45], v[72:73], v[44:45]
	v_sub_f32_e32 v65, v56, v57
	v_mul_f32_e32 v56, 0xbf29c268, v38
	v_mov_b32_e32 v57, v60
	v_pk_mul_f32 v[68:69], v[66:67], s[14:15]
	v_pk_add_f32 v[44:45], v[44:45], v[2:3]
	v_mov_b32_e32 v46, v25
	v_fmac_f32_e32 v71, 0x3eedf032, v42
	v_pk_fma_f32 v[58:59], v[58:59], s[16:17], v[56:57]
	v_mov_b32_e32 v57, v68
	v_pk_add_f32 v[44:45], v[46:47], v[44:45]
	v_mov_b32_e32 v54, v27
	v_add_f32_e32 v7, v3, v71
	v_pk_fma_f32 v[66:67], v[66:67], s[14:15], v[56:57]
	v_pk_add_f32 v[44:45], v[54:55], v[44:45]
	v_mov_b32_e32 v58, v29
	v_add_f32_e32 v7, v7, v63
	s_mov_b32 s1, 0xbe750f2a
	v_sub_f32_e32 v61, v60, v61
	v_pk_add_f32 v[44:45], v[58:59], v[44:45]
	v_mov_b32_e32 v66, v31
	s_mov_b32 s0, 0xbf788fa5
	v_add_f32_e32 v7, v7, v65
	v_mov_b32_e32 v58, v17
	v_mov_b32_e32 v59, v18
	v_pk_add_f32 v[44:45], v[66:67], v[44:45]
	v_add_f32_e32 v7, v7, v61
	v_sub_f32_e32 v9, v68, v69
	v_pk_mul_f32 v[66:67], v[58:59], s[0:1]
	v_add_f32_e32 v9, v7, v9
	v_mov_b32_e32 v7, v66
	v_pk_fma_f32 v[58:59], v[58:59], s[0:1], v[6:7]
	s_mov_b32 s22, s7
	v_mov_b32_e32 v58, v11
	s_mov_b32 s23, s19
	s_mov_b32 s27, 0x3f6f5d39
	;; [unrolled: 1-line block ×3, first 2 shown]
	v_pk_add_f32 v[44:45], v[58:59], v[44:45]
	v_pk_mul_f32 v[58:59], v[42:43], s[22:23] op_sel_hi:[0,1]
	s_mov_b32 s24, s17
	s_mov_b32 s25, s1
	v_pk_mul_f32 v[70:71], v[38:39], s[26:27] op_sel_hi:[0,1]
	s_mov_b32 s26, s6
	s_mov_b32 s27, s18
	v_sub_f32_e32 v7, v66, v67
	s_mov_b32 s22, s16
	s_mov_b32 s23, s0
	v_pk_mul_f32 v[66:67], v[40:41], s[24:25] op_sel_hi:[0,1]
	v_pk_fma_f32 v[78:79], v[4:5], s[26:27], v[58:59] op_sel:[1,0,0]
	s_mov_b32 s11, 0x3eedf032
	v_pk_fma_f32 v[68:69], v[12:13], s[22:23], v[66:67] op_sel:[1,0,0]
	s_mov_b32 s24, s0
	s_mov_b32 s25, s16
	;; [unrolled: 1-line block ×3, first 2 shown]
	v_pk_add_f32 v[78:79], v[2:3], v[78:79] op_sel:[1,0]
	v_pk_fma_f32 v[58:59], v[4:5], s[26:27], v[58:59] op_sel:[1,0,0] neg_lo:[0,0,1] neg_hi:[0,0,1]
	s_mov_b32 s13, 0x3f62ad3f
	v_pk_fma_f32 v[72:73], v[20:21], s[24:25], v[70:71] op_sel:[1,0,0]
	s_mov_b32 s12, s14
	v_pk_mul_f32 v[74:75], v[36:37], s[10:11] op_sel_hi:[0,1]
	v_pk_add_f32 v[68:69], v[78:79], v[68:69]
	s_mov_b32 s30, 0x3f7e222b
	s_mov_b32 s31, s7
	v_pk_fma_f32 v[66:67], v[12:13], s[22:23], v[66:67] op_sel:[1,0,0] neg_lo:[0,0,1] neg_hi:[0,0,1]
	v_pk_add_f32 v[58:59], v[2:3], v[58:59] op_sel:[1,0]
	v_pk_fma_f32 v[76:77], v[22:23], s[12:13], v[74:75] op_sel:[1,0,0]
	v_pk_add_f32 v[68:69], v[68:69], v[72:73]
	s_mov_b32 s28, s18
	s_mov_b32 s29, s6
	v_pk_mul_f32 v[72:73], v[32:33], s[30:31] op_sel_hi:[0,1]
	v_pk_fma_f32 v[70:71], v[20:21], s[24:25], v[70:71] op_sel:[1,0,0] neg_lo:[0,0,1] neg_hi:[0,0,1]
	v_pk_add_f32 v[58:59], v[58:59], v[66:67]
	v_pk_add_f32 v[68:69], v[68:69], v[76:77]
	v_pk_fma_f32 v[76:77], v[14:15], s[28:29], v[72:73] op_sel:[1,0,0]
	s_mov_b32 s36, s11
	s_mov_b32 s37, s15
	v_pk_fma_f32 v[74:75], v[22:23], s[12:13], v[74:75] op_sel:[1,0,0] neg_lo:[0,0,1] neg_hi:[0,0,1]
	v_pk_add_f32 v[58:59], v[58:59], v[70:71]
	s_mov_b32 s22, s17
	s_mov_b32 s23, s15
	;; [unrolled: 1-line block ×4, first 2 shown]
	v_mul_f32_e32 v26, 0xbe750f2a, v42
	v_pk_add_f32 v[68:69], v[68:69], v[76:77]
	s_mov_b32 s34, s13
	s_mov_b32 s35, s14
	v_pk_mul_f32 v[76:77], v[18:19], s[36:37] op_sel_hi:[0,1]
	v_pk_add_f32 v[58:59], v[58:59], v[74:75]
	v_pk_fma_f32 v[66:67], v[14:15], s[28:29], v[72:73] op_sel:[1,0,0] neg_lo:[0,0,1] neg_hi:[0,0,1]
	v_pk_mul_f32 v[42:43], v[42:43], s[22:23] op_sel_hi:[0,1]
	s_mov_b32 s15, s18
	s_mov_b32 s22, s10
	;; [unrolled: 1-line block ×3, first 2 shown]
	v_pk_mul_f32 v[38:39], v[38:39], s[24:25] op_sel_hi:[0,1]
	s_mov_b32 s24, s18
	s_mov_b32 s26, s19
	;; [unrolled: 1-line block ×4, first 2 shown]
	v_mul_f32_e32 v30, 0x3eedf032, v40
	v_pk_add_f32 v[58:59], v[58:59], v[66:67]
	v_pk_fma_f32 v[66:67], v[16:17], s[34:35], v[76:77] op_sel:[1,0,0] neg_lo:[0,0,1] neg_hi:[0,0,1]
	v_pk_mul_f32 v[40:41], v[40:41], s[22:23] op_sel_hi:[0,1]
	v_pk_fma_f32 v[74:75], v[4:5], s[18:19], v[42:43] op_sel:[1,0,0]
	v_mul_f32_e32 v10, 0xbf788fa5, v5
	v_pk_add_f32 v[58:59], v[58:59], v[66:67]
	v_pk_fma_f32 v[66:67], v[12:13], s[14:15], v[40:41] op_sel:[1,0,0]
	s_mov_b32 s22, s13
	s_mov_b32 s23, s6
	;; [unrolled: 1-line block ×3, first 2 shown]
	v_pk_add_f32 v[74:75], v[2:3], v[74:75] op_sel:[1,0]
	v_pk_fma_f32 v[4:5], v[4:5], s[18:19], v[42:43] op_sel:[1,0,0] neg_lo:[0,0,1] neg_hi:[0,0,1]
	v_mul_f32_e32 v28, 0x3f62ad3f, v13
	v_mul_f32_e32 v62, 0x3f52af12, v36
	v_pk_fma_f32 v[70:71], v[20:21], s[22:23], v[38:39] op_sel:[1,0,0]
	s_mov_b32 s25, s0
	v_pk_mul_f32 v[36:37], v[36:37], s[26:27] op_sel_hi:[0,1]
	v_pk_add_f32 v[66:67], v[74:75], v[66:67]
	s_mov_b32 s10, s27
	v_pk_fma_f32 v[12:13], v[12:13], s[14:15], v[40:41] op_sel:[1,0,0] neg_lo:[0,0,1] neg_hi:[0,0,1]
	v_pk_add_f32 v[4:5], v[2:3], v[4:5] op_sel:[1,0]
	v_mul_f32_e32 v34, 0xbf3f9e67, v21
	v_mul_f32_e32 v54, 0xbf6f5d39, v32
	v_pk_fma_f32 v[72:73], v[22:23], s[24:25], v[36:37] op_sel:[1,0,0]
	v_pk_add_f32 v[66:67], v[66:67], v[70:71]
	s_mov_b32 s1, s13
	v_pk_mul_f32 v[32:33], v[32:33], s[10:11] op_sel_hi:[0,1]
	v_pk_fma_f32 v[20:21], v[20:21], s[22:23], v[38:39] op_sel:[1,0,0] neg_lo:[0,0,1] neg_hi:[0,0,1]
	v_pk_add_f32 v[4:5], v[4:5], v[12:13]
	v_mul_f32_e32 v60, 0x3f116cb1, v23
	s_mov_b32 s20, 0x3f52af12
	v_pk_add_f32 v[66:67], v[66:67], v[72:73]
	v_pk_fma_f32 v[70:71], v[14:15], s[0:1], v[32:33] op_sel:[1,0,0]
	s_mov_b32 s21, s17
	v_pk_fma_f32 v[22:23], v[22:23], s[24:25], v[36:37] op_sel:[1,0,0] neg_lo:[0,0,1] neg_hi:[0,0,1]
	v_pk_add_f32 v[4:5], v[4:5], v[20:21]
	v_pk_add_f32 v[66:67], v[66:67], v[70:71]
	s_mov_b32 s7, s16
	v_pk_mul_f32 v[70:71], v[18:19], s[20:21] op_sel_hi:[0,1]
	v_pk_add_f32 v[4:5], v[4:5], v[22:23]
	v_pk_fma_f32 v[12:13], v[14:15], s[0:1], v[32:33] op_sel:[1,0,0] neg_lo:[0,0,1] neg_hi:[0,0,1]
	v_pk_fma_f32 v[78:79], v[16:17], s[34:35], v[76:77] op_sel:[1,0,0]
	v_pk_add_f32 v[4:5], v[4:5], v[12:13]
	v_pk_fma_f32 v[12:13], v[16:17], s[6:7], v[70:71] op_sel:[1,0,0] neg_lo:[0,0,1] neg_hi:[0,0,1]
	v_pk_fma_f32 v[72:73], v[16:17], s[6:7], v[70:71] op_sel:[1,0,0]
	v_pk_add_f32 v[4:5], v[4:5], v[12:13]
	v_mul_f32_e32 v12, 0x3df6dbef, v17
	v_mul_f32_e32 v14, 0x3f7e222b, v18
	v_pk_add_f32 v[16:17], v[28:29], v[30:31]
	v_pk_add_f32 v[18:19], v[28:29], v[30:31] neg_lo:[0,1] neg_hi:[0,1]
	v_pk_add_f32 v[20:21], v[34:35], v[56:57] neg_lo:[0,1] neg_hi:[0,1]
	v_mov_b32_e32 v17, v18
	v_pk_add_f32 v[18:19], v[34:35], v[56:57]
	v_pk_add_f32 v[22:23], v[60:61], v[62:63] neg_lo:[0,1] neg_hi:[0,1]
	v_mov_b32_e32 v19, v20
	v_pk_add_f32 v[20:21], v[60:61], v[62:63]
	v_mul_f32_e32 v46, 0xbeb58ec6, v15
	v_mov_b32_e32 v21, v22
	v_pk_add_f32 v[22:23], v[10:11], v[26:27]
	v_pk_add_f32 v[10:11], v[10:11], v[26:27] neg_lo:[0,1] neg_hi:[0,1]
	v_add_f32_e32 v7, v9, v7
	v_mov_b32_e32 v23, v10
	v_pk_add_f32 v[2:3], v[2:3], v[22:23] op_sel:[1,0]
	v_pk_add_f32 v[10:11], v[46:47], v[54:55]
	v_pk_add_f32 v[2:3], v[2:3], v[16:17]
	v_pk_add_f32 v[16:17], v[46:47], v[54:55] neg_lo:[0,1] neg_hi:[0,1]
	v_pk_add_f32 v[2:3], v[2:3], v[18:19]
	v_mov_b32_e32 v11, v16
	v_pk_add_f32 v[2:3], v[2:3], v[20:21]
	v_mad_u32_u24 v9, v64, 48, v8
	v_pk_add_f32 v[2:3], v[2:3], v[10:11]
	v_pk_add_f32 v[10:11], v[12:13], v[14:15]
	v_pk_add_f32 v[12:13], v[12:13], v[14:15] neg_lo:[0,1] neg_hi:[0,1]
	v_pk_add_f32 v[68:69], v[68:69], v[78:79]
	v_mov_b32_e32 v11, v12
	v_pk_add_f32 v[66:67], v[66:67], v[72:73]
	v_pk_add_f32 v[2:3], v[2:3], v[10:11]
	ds_write2_b32 v9, v44, v45 offset1:1
	ds_write2_b32 v9, v68, v69 offset0:2 offset1:3
	ds_write2_b32 v9, v66, v67 offset0:4 offset1:5
	;; [unrolled: 1-line block ×5, first 2 shown]
	ds_write_b32 v9, v7 offset:48
.LBB0_15:
	s_or_b64 exec, exec, s[2:3]
	s_movk_i32 s0, 0x4f
	v_add_u32_e32 v9, 0x75, v64
	v_mul_lo_u16_sdwa v2, v64, s0 dst_sel:DWORD dst_unused:UNUSED_PAD src0_sel:BYTE_0 src1_sel:DWORD
	v_lshrrev_b16_e32 v7, 10, v2
	v_mul_lo_u16_sdwa v3, v9, s0 dst_sel:DWORD dst_unused:UNUSED_PAD src0_sel:BYTE_0 src1_sel:DWORD
	v_mul_lo_u16_e32 v2, 13, v7
	v_lshrrev_b16_e32 v21, 10, v3
	v_sub_u16_e32 v20, v64, v2
	v_mov_b32_e32 v10, 4
	v_mul_lo_u16_e32 v11, 13, v21
	v_lshlrev_b32_sdwa v2, v10, v20 dst_sel:DWORD dst_unused:UNUSED_PAD src0_sel:DWORD src1_sel:BYTE_0
	v_sub_u16_e32 v22, v9, v11
	s_waitcnt lgkmcnt(0)
	s_barrier
	global_load_dwordx4 v[2:5], v2, s[4:5]
	v_lshlrev_b32_sdwa v10, v10, v22 dst_sel:DWORD dst_unused:UNUSED_PAD src0_sel:DWORD src1_sel:BYTE_0
	global_load_dwordx4 v[10:13], v10, s[4:5]
	ds_read2_b32 v[14:15], v8 offset1:117
	ds_read2_b32 v[16:17], v6 offset0:106 offset1:223
	ds_read2_b32 v[18:19], v24 offset0:84 offset1:201
	v_mov_b32_e32 v25, 2
	v_mul_u32_u24_e32 v7, 0x9c, v7
	v_mul_u32_u24_e32 v21, 0x9c, v21
	v_lshlrev_b32_sdwa v20, v25, v20 dst_sel:DWORD dst_unused:UNUSED_PAD src0_sel:DWORD src1_sel:BYTE_0
	v_lshlrev_b32_sdwa v22, v25, v22 dst_sel:DWORD dst_unused:UNUSED_PAD src0_sel:DWORD src1_sel:BYTE_0
	v_add3_u32 v7, 0, v7, v20
	v_add3_u32 v22, 0, v21, v22
	s_movk_i32 s0, 0xa5
	s_waitcnt lgkmcnt(0)
	s_barrier
	s_movk_i32 s1, 0x3a8
	s_waitcnt vmcnt(1)
	v_mul_f32_e32 v20, v16, v3
	v_mul_f32_e32 v3, v50, v3
	;; [unrolled: 1-line block ×4, first 2 shown]
	s_waitcnt vmcnt(0)
	v_mul_f32_e32 v23, v17, v11
	v_mul_f32_e32 v11, v51, v11
	;; [unrolled: 1-line block ×4, first 2 shown]
	v_fma_f32 v20, v50, v2, -v20
	v_fmac_f32_e32 v3, v16, v2
	v_fma_f32 v2, v52, v4, -v21
	v_fmac_f32_e32 v5, v18, v4
	;; [unrolled: 2-line block ×4, first 2 shown]
	v_add_f32_e32 v12, v48, v20
	v_add_f32_e32 v16, v20, v2
	v_sub_f32_e32 v17, v3, v5
	v_add_f32_e32 v18, v14, v3
	v_add_f32_e32 v3, v3, v5
	v_sub_f32_e32 v19, v20, v2
	v_add_f32_e32 v21, v4, v10
	v_sub_f32_e32 v23, v11, v13
	v_add_f32_e32 v26, v15, v11
	v_add_f32_e32 v11, v11, v13
	;; [unrolled: 1-line block ×3, first 2 shown]
	v_fma_f32 v12, -0.5, v16, v48
	v_add_f32_e32 v20, v49, v4
	v_fma_f32 v3, -0.5, v3, v14
	v_fmac_f32_e32 v49, -0.5, v21
	v_fmac_f32_e32 v15, -0.5, v11
	v_fmamk_f32 v11, v17, 0x3f5db3d7, v12
	v_sub_f32_e32 v4, v4, v10
	v_add_f32_e32 v5, v18, v5
	v_add_f32_e32 v10, v20, v10
	v_fmac_f32_e32 v12, 0xbf5db3d7, v17
	v_fmamk_f32 v14, v19, 0xbf5db3d7, v3
	v_fmac_f32_e32 v3, 0x3f5db3d7, v19
	v_fmamk_f32 v16, v23, 0x3f5db3d7, v49
	v_fmac_f32_e32 v49, 0xbf5db3d7, v23
	ds_write2_b32 v7, v2, v11 offset1:13
	ds_write_b32 v7, v12 offset:104
	ds_write2_b32 v22, v10, v16 offset1:13
	ds_write_b32 v22, v49 offset:104
	v_mul_lo_u16_sdwa v2, v64, s0 dst_sel:DWORD dst_unused:UNUSED_PAD src0_sel:BYTE_0 src1_sel:DWORD
	v_add_f32_e32 v13, v26, v13
	v_fmamk_f32 v23, v4, 0xbf5db3d7, v15
	v_fmac_f32_e32 v15, 0x3f5db3d7, v4
	s_waitcnt lgkmcnt(0)
	s_barrier
	ds_read2_b32 v[16:17], v8 offset1:117
	ds_read2_b32 v[18:19], v6 offset0:106 offset1:223
	ds_read2_b32 v[20:21], v24 offset0:84 offset1:201
	s_waitcnt lgkmcnt(0)
	s_barrier
	ds_write2_b32 v7, v5, v14 offset1:13
	ds_write_b32 v7, v3 offset:104
	ds_write2_b32 v22, v13, v23 offset1:13
	ds_write_b32 v22, v15 offset:104
	v_sub_u16_sdwa v3, v64, v2 dst_sel:DWORD dst_unused:UNUSED_PAD src0_sel:DWORD src1_sel:BYTE_1
	v_lshrrev_b16_e32 v3, 1, v3
	v_and_b32_e32 v3, 0x7f, v3
	v_add_u16_sdwa v2, v3, v2 dst_sel:DWORD dst_unused:UNUSED_PAD src0_sel:DWORD src1_sel:BYTE_1
	v_lshrrev_b16_e32 v2, 5, v2
	v_and_b32_e32 v7, 7, v2
	v_mul_lo_u16_e32 v2, 39, v7
	v_sub_u16_e32 v30, v64, v2
	v_mov_b32_e32 v2, 5
	v_mul_u32_u24_sdwa v2, v30, v2 dst_sel:DWORD dst_unused:UNUSED_PAD src0_sel:BYTE_0 src1_sel:DWORD
	v_lshlrev_b32_e32 v22, 3, v2
	s_waitcnt lgkmcnt(0)
	s_barrier
	global_load_dwordx4 v[2:5], v22, s[4:5] offset:208
	global_load_dwordx4 v[10:13], v22, s[4:5] offset:224
	global_load_dwordx2 v[14:15], v22, s[4:5] offset:240
	ds_read2_b32 v[22:23], v8 offset1:117
	ds_read2_b32 v[26:27], v6 offset0:106 offset1:223
	ds_read2_b32 v[28:29], v24 offset0:84 offset1:201
	v_mul_u32_u24_sdwa v7, v7, s1 dst_sel:DWORD dst_unused:UNUSED_PAD src0_sel:WORD_0 src1_sel:DWORD
	s_waitcnt lgkmcnt(0)
	s_barrier
	s_mov_b32 s0, 0x3f5db3d7
	s_waitcnt vmcnt(2)
	v_mul_f32_e32 v31, v23, v3
	v_mul_f32_e32 v3, v17, v3
	v_mul_f32_e32 v32, v26, v5
	v_mul_f32_e32 v5, v18, v5
	s_waitcnt vmcnt(1)
	v_mul_f32_e32 v33, v27, v11
	v_mul_f32_e32 v11, v19, v11
	;; [unrolled: 1-line block ×4, first 2 shown]
	s_waitcnt vmcnt(0)
	v_mul_f32_e32 v35, v29, v15
	v_mul_f32_e32 v15, v21, v15
	v_fma_f32 v17, v17, v2, -v31
	v_fmac_f32_e32 v3, v23, v2
	v_fma_f32 v2, v18, v4, -v32
	v_fmac_f32_e32 v5, v26, v4
	;; [unrolled: 2-line block ×5, first 2 shown]
	v_sub_f32_e32 v19, v5, v13
	v_add_f32_e32 v20, v22, v5
	v_add_f32_e32 v5, v5, v13
	;; [unrolled: 1-line block ×3, first 2 shown]
	v_sub_f32_e32 v26, v11, v15
	v_add_f32_e32 v27, v3, v11
	v_add_f32_e32 v11, v11, v15
	;; [unrolled: 1-line block ×4, first 2 shown]
	v_sub_f32_e32 v2, v2, v10
	v_add_f32_e32 v21, v17, v4
	v_sub_f32_e32 v4, v4, v12
	v_fmac_f32_e32 v22, -0.5, v5
	v_fmac_f32_e32 v17, -0.5, v23
	;; [unrolled: 1-line block ×3, first 2 shown]
	v_add_f32_e32 v10, v14, v10
	v_fmac_f32_e32 v16, -0.5, v18
	v_add_f32_e32 v5, v21, v12
	v_add_f32_e32 v12, v27, v15
	v_fmamk_f32 v14, v2, 0xbf5db3d7, v22
	v_fmac_f32_e32 v22, 0x3f5db3d7, v2
	v_fmamk_f32 v2, v26, 0x3f5db3d7, v17
	v_fmac_f32_e32 v17, 0xbf5db3d7, v26
	v_fmamk_f32 v15, v4, 0xbf5db3d7, v3
	v_fmamk_f32 v11, v19, 0x3f5db3d7, v16
	v_fmac_f32_e32 v16, 0xbf5db3d7, v19
	v_fmac_f32_e32 v3, 0x3f5db3d7, v4
	v_add_f32_e32 v4, v10, v5
	v_sub_f32_e32 v5, v10, v5
	v_mul_f32_e32 v10, 0x3f5db3d7, v15
	v_mul_f32_e32 v19, -0.5, v17
	v_fmac_f32_e32 v10, 0.5, v2
	v_fmac_f32_e32 v19, 0x3f5db3d7, v3
	v_add_f32_e32 v13, v20, v13
	v_mul_f32_e32 v20, 0xbf5db3d7, v2
	v_mul_f32_e32 v21, -0.5, v3
	v_add_f32_e32 v2, v11, v10
	v_add_f32_e32 v3, v16, v19
	v_sub_f32_e32 v10, v11, v10
	v_sub_f32_e32 v11, v16, v19
	v_lshlrev_b32_sdwa v16, v25, v30 dst_sel:DWORD dst_unused:UNUSED_PAD src0_sel:DWORD src1_sel:BYTE_0
	v_add3_u32 v16, 0, v7, v16
	ds_write2_b32 v16, v4, v2 offset1:39
	ds_write2_b32 v16, v3, v5 offset0:78 offset1:117
	ds_write2_b32 v16, v10, v11 offset0:156 offset1:195
	s_waitcnt lgkmcnt(0)
	s_barrier
	ds_read2_b32 v[2:3], v8 offset1:117
	ds_read2_b32 v[6:7], v6 offset0:106 offset1:223
	ds_read2_b32 v[4:5], v24 offset0:84 offset1:201
	v_fmac_f32_e32 v20, 0.5, v15
	v_add_f32_e32 v18, v13, v12
	v_fmac_f32_e32 v21, 0xbf5db3d7, v17
	v_add_f32_e32 v15, v14, v20
	v_add_f32_e32 v17, v22, v21
	v_sub_f32_e32 v12, v13, v12
	v_sub_f32_e32 v13, v14, v20
	;; [unrolled: 1-line block ×3, first 2 shown]
	s_waitcnt lgkmcnt(0)
	s_barrier
	ds_write2_b32 v16, v18, v15 offset1:39
	ds_write2_b32 v16, v17, v12 offset0:78 offset1:117
	ds_write2_b32 v16, v13, v14 offset0:156 offset1:195
	s_waitcnt lgkmcnt(0)
	s_barrier
	s_and_saveexec_b64 s[2:3], vcc
	s_cbranch_execz .LBB0_17
; %bb.16:
	v_lshlrev_b32_e32 v10, 1, v9
	v_mov_b32_e32 v11, 0
	v_lshl_add_u64 v[18:19], v[10:11], 3, s[4:5]
	v_lshlrev_b32_e32 v10, 1, v64
	v_lshl_add_u64 v[20:21], v[10:11], 3, s[4:5]
	global_load_dwordx4 v[10:13], v[20:21], off offset:1768
	global_load_dwordx4 v[14:17], v[18:19], off offset:1768
	ds_read2_b32 v[18:19], v8 offset1:117
	v_mad_u64_u32 v[20:21], s[2:3], s8, v64, 0
	v_add_u32_e32 v33, 0xea, v64
	v_lshrrev_b32_e32 v27, 1, v9
	s_mov_b32 s4, 0x8c08c08d
	v_add_u32_e32 v35, 0x1d4, v64
	v_mov_b32_e32 v26, v21
	v_mad_u64_u32 v[28:29], s[2:3], s8, v33, 0
	v_mul_hi_u32 v21, v27, s4
	s_movk_i32 s1, 0x1d4
	v_mad_u64_u32 v[30:31], s[2:3], s8, v35, 0
	v_mad_u64_u32 v[26:27], s[2:3], s9, v64, v[26:27]
	v_mov_b32_e32 v32, v29
	v_lshrrev_b32_e32 v29, 6, v21
	v_add_u32_e32 v22, 0x200, v8
	v_add_u32_e32 v24, 0x600, v8
	v_mov_b32_e32 v34, v31
	v_mov_b32_e32 v21, v26
	v_mad_u64_u32 v[26:27], s[2:3], s9, v33, v[32:33]
	v_mad_u32_u24 v36, v29, s1, v9
	ds_read2_b32 v[22:23], v22 offset0:106 offset1:223
	ds_read2_b32 v[24:25], v24 offset0:84 offset1:201
	v_mad_u64_u32 v[32:33], s[2:3], s9, v35, v[34:35]
	v_mov_b32_e32 v29, v26
	v_mad_u64_u32 v[26:27], s[2:3], s8, v36, 0
	v_add_u32_e32 v39, 0xea, v36
	v_add_u32_e32 v41, 0x1d4, v36
	v_mov_b32_e32 v31, v32
	s_waitcnt lgkmcnt(2)
	v_mov_b32_e32 v9, v18
	v_mov_b32_e32 v18, v27
	v_mad_u64_u32 v[32:33], s[2:3], s8, v39, 0
	v_mad_u64_u32 v[34:35], s[2:3], s8, v41, 0
	;; [unrolled: 1-line block ×3, first 2 shown]
	v_mov_b32_e32 v18, v33
	v_mov_b32_e32 v38, v35
	;; [unrolled: 1-line block ×3, first 2 shown]
	v_mad_u64_u32 v[36:37], s[2:3], s9, v39, v[18:19]
	v_mad_u64_u32 v[38:39], s[2:3], s9, v41, v[38:39]
	v_mov_b32_e32 v33, v36
	v_mov_b32_e32 v35, v38
	v_lshl_add_u64 v[20:21], v[20:21], 3, v[0:1]
	v_lshl_add_u64 v[28:29], v[28:29], 3, v[0:1]
	;; [unrolled: 1-line block ×3, first 2 shown]
	s_waitcnt lgkmcnt(1)
	v_mov_b32_e32 v40, v23
	v_lshl_add_u64 v[26:27], v[26:27], 3, v[0:1]
	v_lshl_add_u64 v[32:33], v[32:33], 3, v[0:1]
	;; [unrolled: 1-line block ×3, first 2 shown]
	v_mov_b32_e32 v8, v2
	v_mov_b32_e32 v2, v7
	;; [unrolled: 1-line block ×3, first 2 shown]
	s_waitcnt vmcnt(1)
	v_pk_mul_f32 v[22:23], v[10:11], v[22:23] op_sel_hi:[1,0]
	s_waitcnt lgkmcnt(0)
	v_pk_mul_f32 v[34:35], v[12:13], v[24:25] op_sel_hi:[1,0]
	v_pk_fma_f32 v[38:39], v[6:7], v[10:11], v[22:23] op_sel:[0,0,1] op_sel_hi:[1,1,0] neg_lo:[0,0,1] neg_hi:[0,0,1]
	v_pk_fma_f32 v[10:11], v[6:7], v[10:11], v[22:23] op_sel:[0,0,1] op_sel_hi:[0,1,0]
	v_pk_fma_f32 v[22:23], v[4:5], v[12:13], v[34:35] op_sel:[0,0,1] op_sel_hi:[1,1,0] neg_lo:[0,0,1] neg_hi:[0,0,1]
	v_pk_fma_f32 v[12:13], v[4:5], v[12:13], v[34:35] op_sel:[0,0,1] op_sel_hi:[0,1,0]
	v_mov_b32_e32 v39, v11
	v_mov_b32_e32 v23, v13
	v_pk_add_f32 v[10:11], v[38:39], v[22:23]
	v_pk_add_f32 v[12:13], v[38:39], v[22:23] neg_lo:[0,1] neg_hi:[0,1]
	v_pk_add_f32 v[34:35], v[8:9], v[38:39]
	v_pk_fma_f32 v[8:9], v[10:11], 0.5, v[8:9] op_sel_hi:[1,0,1] neg_lo:[1,0,0] neg_hi:[1,0,0]
	v_pk_mul_f32 v[10:11], v[12:13], s[0:1] op_sel_hi:[1,0]
	s_waitcnt vmcnt(0)
	v_pk_mul_f32 v[36:37], v[14:15], v[40:41] op_sel_hi:[1,0]
	v_pk_add_f32 v[12:13], v[34:35], v[22:23]
	v_pk_add_f32 v[22:23], v[8:9], v[10:11] op_sel:[0,1] op_sel_hi:[1,0] neg_lo:[0,1] neg_hi:[0,1]
	v_pk_add_f32 v[8:9], v[8:9], v[10:11] op_sel:[0,1] op_sel_hi:[1,0]
	v_mov_b32_e32 v4, v7
	v_mov_b32_e32 v10, v8
	;; [unrolled: 1-line block ×4, first 2 shown]
	v_pk_fma_f32 v[6:7], v[2:3], v[14:15], v[36:37] op_sel:[0,0,1] op_sel_hi:[1,1,0] neg_lo:[0,0,1] neg_hi:[0,0,1]
	v_pk_fma_f32 v[8:9], v[4:5], v[14:15], v[36:37] op_sel:[0,0,1] op_sel_hi:[0,1,0]
	v_mov_b32_e32 v2, v25
	v_mov_b32_e32 v7, v9
	v_pk_mul_f32 v[8:9], v[16:17], v[2:3] op_sel_hi:[1,0]
	v_mov_b32_e32 v2, v5
	v_mov_b32_e32 v4, v5
	global_store_dwordx2 v[20:21], v[12:13], off
	global_store_dwordx2 v[28:29], v[10:11], off
	;; [unrolled: 1-line block ×3, first 2 shown]
	v_pk_fma_f32 v[10:11], v[2:3], v[16:17], v[8:9] op_sel:[0,0,1] op_sel_hi:[1,1,0] neg_lo:[0,0,1] neg_hi:[0,0,1]
	v_pk_fma_f32 v[4:5], v[4:5], v[16:17], v[8:9] op_sel:[0,0,1] op_sel_hi:[0,1,0]
	v_mov_b32_e32 v11, v5
	v_pk_add_f32 v[4:5], v[6:7], v[10:11]
	s_nop 0
	v_pk_fma_f32 v[2:3], v[4:5], 0.5, v[18:19] op_sel_hi:[1,0,1] neg_lo:[1,0,0] neg_hi:[1,0,0]
	v_pk_add_f32 v[4:5], v[6:7], v[10:11] neg_lo:[0,1] neg_hi:[0,1]
	s_nop 0
	v_pk_mul_f32 v[4:5], v[4:5], s[0:1] op_sel_hi:[1,0]
	s_nop 0
	v_pk_add_f32 v[8:9], v[2:3], v[4:5] op_sel:[0,1] op_sel_hi:[1,0] neg_lo:[0,1] neg_hi:[0,1]
	v_pk_add_f32 v[2:3], v[2:3], v[4:5] op_sel:[0,1] op_sel_hi:[1,0]
	v_pk_add_f32 v[4:5], v[18:19], v[6:7]
	s_nop 0
	v_pk_add_f32 v[4:5], v[4:5], v[10:11]
	global_store_dwordx2 v[26:27], v[4:5], off
	v_mov_b32_e32 v4, v2
	v_mov_b32_e32 v5, v9
	;; [unrolled: 1-line block ×3, first 2 shown]
	global_store_dwordx2 v[32:33], v[4:5], off
	global_store_dwordx2 v[0:1], v[8:9], off
.LBB0_17:
	s_endpgm
	.section	.rodata,"a",@progbits
	.p2align	6, 0x0
	.amdhsa_kernel fft_rtc_fwd_len702_factors_13_3_6_3_wgs_117_tpt_117_halfLds_sp_ip_CI_sbrr_dirReg
		.amdhsa_group_segment_fixed_size 0
		.amdhsa_private_segment_fixed_size 0
		.amdhsa_kernarg_size 88
		.amdhsa_user_sgpr_count 2
		.amdhsa_user_sgpr_dispatch_ptr 0
		.amdhsa_user_sgpr_queue_ptr 0
		.amdhsa_user_sgpr_kernarg_segment_ptr 1
		.amdhsa_user_sgpr_dispatch_id 0
		.amdhsa_user_sgpr_kernarg_preload_length 0
		.amdhsa_user_sgpr_kernarg_preload_offset 0
		.amdhsa_user_sgpr_private_segment_size 0
		.amdhsa_uses_dynamic_stack 0
		.amdhsa_enable_private_segment 0
		.amdhsa_system_sgpr_workgroup_id_x 1
		.amdhsa_system_sgpr_workgroup_id_y 0
		.amdhsa_system_sgpr_workgroup_id_z 0
		.amdhsa_system_sgpr_workgroup_info 0
		.amdhsa_system_vgpr_workitem_id 0
		.amdhsa_next_free_vgpr 95
		.amdhsa_next_free_sgpr 46
		.amdhsa_accum_offset 96
		.amdhsa_reserve_vcc 1
		.amdhsa_float_round_mode_32 0
		.amdhsa_float_round_mode_16_64 0
		.amdhsa_float_denorm_mode_32 3
		.amdhsa_float_denorm_mode_16_64 3
		.amdhsa_dx10_clamp 1
		.amdhsa_ieee_mode 1
		.amdhsa_fp16_overflow 0
		.amdhsa_tg_split 0
		.amdhsa_exception_fp_ieee_invalid_op 0
		.amdhsa_exception_fp_denorm_src 0
		.amdhsa_exception_fp_ieee_div_zero 0
		.amdhsa_exception_fp_ieee_overflow 0
		.amdhsa_exception_fp_ieee_underflow 0
		.amdhsa_exception_fp_ieee_inexact 0
		.amdhsa_exception_int_div_zero 0
	.end_amdhsa_kernel
	.text
.Lfunc_end0:
	.size	fft_rtc_fwd_len702_factors_13_3_6_3_wgs_117_tpt_117_halfLds_sp_ip_CI_sbrr_dirReg, .Lfunc_end0-fft_rtc_fwd_len702_factors_13_3_6_3_wgs_117_tpt_117_halfLds_sp_ip_CI_sbrr_dirReg
                                        ; -- End function
	.section	.AMDGPU.csdata,"",@progbits
; Kernel info:
; codeLenInByte = 6848
; NumSgprs: 52
; NumVgprs: 95
; NumAgprs: 0
; TotalNumVgprs: 95
; ScratchSize: 0
; MemoryBound: 0
; FloatMode: 240
; IeeeMode: 1
; LDSByteSize: 0 bytes/workgroup (compile time only)
; SGPRBlocks: 6
; VGPRBlocks: 11
; NumSGPRsForWavesPerEU: 52
; NumVGPRsForWavesPerEU: 95
; AccumOffset: 96
; Occupancy: 5
; WaveLimiterHint : 1
; COMPUTE_PGM_RSRC2:SCRATCH_EN: 0
; COMPUTE_PGM_RSRC2:USER_SGPR: 2
; COMPUTE_PGM_RSRC2:TRAP_HANDLER: 0
; COMPUTE_PGM_RSRC2:TGID_X_EN: 1
; COMPUTE_PGM_RSRC2:TGID_Y_EN: 0
; COMPUTE_PGM_RSRC2:TGID_Z_EN: 0
; COMPUTE_PGM_RSRC2:TIDIG_COMP_CNT: 0
; COMPUTE_PGM_RSRC3_GFX90A:ACCUM_OFFSET: 23
; COMPUTE_PGM_RSRC3_GFX90A:TG_SPLIT: 0
	.text
	.p2alignl 6, 3212836864
	.fill 256, 4, 3212836864
	.type	__hip_cuid_dfa6923dbebc6977,@object ; @__hip_cuid_dfa6923dbebc6977
	.section	.bss,"aw",@nobits
	.globl	__hip_cuid_dfa6923dbebc6977
__hip_cuid_dfa6923dbebc6977:
	.byte	0                               ; 0x0
	.size	__hip_cuid_dfa6923dbebc6977, 1

	.ident	"AMD clang version 19.0.0git (https://github.com/RadeonOpenCompute/llvm-project roc-6.4.0 25133 c7fe45cf4b819c5991fe208aaa96edf142730f1d)"
	.section	".note.GNU-stack","",@progbits
	.addrsig
	.addrsig_sym __hip_cuid_dfa6923dbebc6977
	.amdgpu_metadata
---
amdhsa.kernels:
  - .agpr_count:     0
    .args:
      - .actual_access:  read_only
        .address_space:  global
        .offset:         0
        .size:           8
        .value_kind:     global_buffer
      - .offset:         8
        .size:           8
        .value_kind:     by_value
      - .actual_access:  read_only
        .address_space:  global
        .offset:         16
        .size:           8
        .value_kind:     global_buffer
      - .actual_access:  read_only
        .address_space:  global
        .offset:         24
        .size:           8
        .value_kind:     global_buffer
      - .offset:         32
        .size:           8
        .value_kind:     by_value
      - .actual_access:  read_only
        .address_space:  global
        .offset:         40
        .size:           8
        .value_kind:     global_buffer
      - .actual_access:  read_only
        .address_space:  global
        .offset:         48
        .size:           8
        .value_kind:     global_buffer
      - .offset:         56
        .size:           4
        .value_kind:     by_value
      - .actual_access:  read_only
        .address_space:  global
        .offset:         64
        .size:           8
        .value_kind:     global_buffer
      - .actual_access:  read_only
        .address_space:  global
        .offset:         72
        .size:           8
        .value_kind:     global_buffer
      - .address_space:  global
        .offset:         80
        .size:           8
        .value_kind:     global_buffer
    .group_segment_fixed_size: 0
    .kernarg_segment_align: 8
    .kernarg_segment_size: 88
    .language:       OpenCL C
    .language_version:
      - 2
      - 0
    .max_flat_workgroup_size: 117
    .name:           fft_rtc_fwd_len702_factors_13_3_6_3_wgs_117_tpt_117_halfLds_sp_ip_CI_sbrr_dirReg
    .private_segment_fixed_size: 0
    .sgpr_count:     52
    .sgpr_spill_count: 0
    .symbol:         fft_rtc_fwd_len702_factors_13_3_6_3_wgs_117_tpt_117_halfLds_sp_ip_CI_sbrr_dirReg.kd
    .uniform_work_group_size: 1
    .uses_dynamic_stack: false
    .vgpr_count:     95
    .vgpr_spill_count: 0
    .wavefront_size: 64
amdhsa.target:   amdgcn-amd-amdhsa--gfx950
amdhsa.version:
  - 1
  - 2
...

	.end_amdgpu_metadata
